;; amdgpu-corpus repo=zjin-lcf/HeCBench kind=compiled arch=gfx1250 opt=O3
	.amdgcn_target "amdgcn-amd-amdhsa--gfx1250"
	.amdhsa_code_object_version 6
	.section	.text._Z16gru_cell_forwardI6__halffiEvPT_S2_S2_S2_S2_S2_S2_T1_S3_,"axG",@progbits,_Z16gru_cell_forwardI6__halffiEvPT_S2_S2_S2_S2_S2_S2_T1_S3_,comdat
	.protected	_Z16gru_cell_forwardI6__halffiEvPT_S2_S2_S2_S2_S2_S2_T1_S3_ ; -- Begin function _Z16gru_cell_forwardI6__halffiEvPT_S2_S2_S2_S2_S2_S2_T1_S3_
	.globl	_Z16gru_cell_forwardI6__halffiEvPT_S2_S2_S2_S2_S2_S2_T1_S3_
	.p2align	8
	.type	_Z16gru_cell_forwardI6__halffiEvPT_S2_S2_S2_S2_S2_S2_T1_S3_,@function
_Z16gru_cell_forwardI6__halffiEvPT_S2_S2_S2_S2_S2_S2_T1_S3_: ; @_Z16gru_cell_forwardI6__halffiEvPT_S2_S2_S2_S2_S2_S2_T1_S3_
; %bb.0:
	s_clause 0x1
	s_load_b32 s4, s[0:1], 0x4c
	s_load_b64 s[2:3], s[0:1], 0x38
	s_bfe_u32 s5, ttmp6, 0x4000c
	s_and_b32 s6, ttmp6, 15
	s_add_co_i32 s5, s5, 1
	s_getreg_b32 s7, hwreg(HW_REG_IB_STS2, 6, 4)
	s_mul_i32 s5, ttmp9, s5
	s_delay_alu instid0(SALU_CYCLE_1) | instskip(SKIP_4) | instid1(SALU_CYCLE_1)
	s_add_co_i32 s6, s6, s5
	s_wait_kmcnt 0x0
	s_and_b32 s4, s4, 0xffff
	s_cmp_eq_u32 s7, 0
	s_cselect_b32 s5, ttmp9, s6
	v_mad_u32 v0, s5, s4, v0
	s_delay_alu instid0(VALU_DEP_1)
	v_cmp_gt_i32_e32 vcc_lo, s3, v0
	s_and_saveexec_b32 s3, vcc_lo
	s_cbranch_execz .LBB0_6
; %bb.1:
	s_abs_i32 s3, s2
	s_load_b64 s[12:13], s[0:1], 0x20
	s_cvt_f32_u32 s4, s3
	s_sub_co_i32 s5, 0, s3
	s_delay_alu instid0(SALU_CYCLE_2) | instskip(SKIP_1) | instid1(TRANS32_DEP_1)
	v_rcp_iflag_f32_e32 v1, s4
	v_nop
	v_readfirstlane_b32 s4, v1
	v_sub_nc_u32_e32 v1, 0, v0
	s_mul_f32 s4, s4, 0x4f7ffffe
	s_delay_alu instid0(VALU_DEP_1) | instskip(NEXT) | instid1(SALU_CYCLE_2)
	v_max_i32_e32 v1, v0, v1
	s_cvt_u32_f32 s4, s4
	s_delay_alu instid0(SALU_CYCLE_3) | instskip(NEXT) | instid1(SALU_CYCLE_1)
	s_mul_i32 s5, s5, s4
	s_mul_hi_u32 s5, s4, s5
	s_delay_alu instid0(SALU_CYCLE_1) | instskip(NEXT) | instid1(SALU_CYCLE_1)
	s_add_co_i32 s4, s4, s5
	v_mul_hi_u32 v2, v1, s4
	s_load_b256 s[4:11], s[0:1], 0x0
	s_delay_alu instid0(VALU_DEP_1) | instskip(NEXT) | instid1(VALU_DEP_1)
	v_mul_lo_u32 v3, v2, s3
	v_dual_sub_nc_u32 v1, v1, v3 :: v_dual_add_nc_u32 v3, 1, v2
	s_delay_alu instid0(VALU_DEP_1) | instskip(NEXT) | instid1(VALU_DEP_2)
	v_cmp_le_u32_e32 vcc_lo, s3, v1
	v_dual_cndmask_b32 v2, v2, v3, vcc_lo :: v_dual_bitop2_b32 v3, s2, v0 bitop3:0x14
	v_subrev_nc_u32_e32 v4, s3, v1
	s_delay_alu instid0(VALU_DEP_1) | instskip(NEXT) | instid1(VALU_DEP_1)
	v_dual_cndmask_b32 v1, v1, v4 :: v_dual_add_nc_u32 v4, 1, v2
	v_cmp_le_u32_e32 vcc_lo, s3, v1
	s_delay_alu instid0(VALU_DEP_4) | instskip(SKIP_1) | instid1(VALU_DEP_3)
	v_ashrrev_i32_e32 v3, 31, v3
	s_mul_i32 s3, s2, 3
	v_cndmask_b32_e32 v1, v2, v4, vcc_lo
	s_delay_alu instid0(VALU_DEP_1) | instskip(NEXT) | instid1(VALU_DEP_1)
	v_xor_b32_e32 v1, v1, v3
	v_sub_nc_u32_e32 v1, v1, v3
	s_delay_alu instid0(VALU_DEP_1) | instskip(NEXT) | instid1(VALU_DEP_1)
	v_mul_lo_u32 v4, v1, s2
	v_sub_nc_u32_e32 v2, v0, v4
	s_delay_alu instid0(VALU_DEP_1)
	v_ashrrev_i32_e32 v3, 31, v2
	v_mad_u32 v6, s3, v1, v2
	s_add_co_i32 s3, s2, s2
	s_wait_kmcnt 0x0
	s_clause 0x1
	global_load_u16 v1, v6, s[4:5] scale_offset
	global_load_u16 v5, v6, s[6:7] scale_offset
	s_clause 0x1
	global_load_u16 v20, v2, s[8:9] scale_offset
	global_load_u16 v21, v2, s[10:11] scale_offset
	v_dual_ashrrev_i32 v7, 31, v6 :: v_dual_add_nc_u32 v12, s3, v6
	v_lshlrev_b64_e32 v[8:9], 1, v[2:3]
	s_wait_xcnt 0x2
	s_delay_alu instid0(VALU_DEP_2)
	v_lshlrev_b64_e32 v[6:7], 1, v[6:7]
	s_wait_loadcnt 0x3
	v_cvt_f32_f16_e32 v1, v1
	s_wait_loadcnt 0x2
	v_cvt_f32_f16_e32 v5, v5
	v_add_nc_u32_e32 v10, s3, v2
	s_ashr_i32 s3, s2, 31
	s_delay_alu instid0(VALU_DEP_2)
	v_add_f32_e32 v1, v1, v5
	s_clause 0x1
	global_load_u16 v22, v10, s[8:9] scale_offset
	global_load_u16 v23, v10, s[10:11] scale_offset
	s_clause 0x1
	global_load_u16 v24, v12, s[4:5] scale_offset
	global_load_u16 v25, v12, s[6:7] scale_offset
	s_wait_xcnt 0x2
	v_add_nc_u64_e32 v[10:11], s[8:9], v[8:9]
	v_add_nc_u64_e32 v[8:9], s[10:11], v[8:9]
	s_wait_xcnt 0x0
	v_add_nc_u64_e32 v[12:13], s[4:5], v[6:7]
	v_add_nc_u64_e32 v[6:7], s[6:7], v[6:7]
	s_lshl_b64 s[4:5], s[2:3], 1
	s_wait_loadcnt 0x4
	v_cvt_f32_f16_e32 v5, v21
	v_add_nc_u64_e32 v[14:15], s[4:5], v[10:11]
	v_add_nc_u64_e32 v[16:17], s[4:5], v[8:9]
	;; [unrolled: 1-line block ×4, first 2 shown]
	global_load_u16 v7, v[14:15], off
	global_load_u16 v6, v[16:17], off
	;; [unrolled: 1-line block ×4, first 2 shown]
	s_load_b64 s[4:5], s[0:1], 0x30
	global_load_u16 v3, v0, s[12:13] scale_offset
	v_cvt_f32_f16_e32 v8, v20
	s_delay_alu instid0(VALU_DEP_1) | instskip(NEXT) | instid1(VALU_DEP_1)
	v_add_f32_e32 v1, v1, v8
	v_add_f32_e32 v1, v1, v5
	s_delay_alu instid0(VALU_DEP_1) | instskip(SKIP_1) | instid1(VALU_DEP_2)
	v_mul_f32_e32 v5, 0xbfb8aa3b, v1
	v_cmp_nlt_f32_e32 vcc_lo, 0x42ce8ed0, v1
	v_fma_f32 v8, 0xbfb8aa3b, v1, -v5
	v_rndne_f32_e32 v11, v5
	s_delay_alu instid0(VALU_DEP_2) | instskip(NEXT) | instid1(VALU_DEP_2)
	v_fmamk_f32 v8, v1, 0xb2a5705f, v8
	v_sub_f32_e32 v5, v5, v11
	s_wait_loadcnt 0x6
	v_cvt_f32_f16_e32 v14, v24
	s_delay_alu instid0(VALU_DEP_2) | instskip(SKIP_3) | instid1(VALU_DEP_3)
	v_add_f32_e32 v5, v5, v8
	v_cvt_i32_f32_e32 v8, v11
	s_wait_loadcnt 0x5
	v_cvt_f32_f16_e32 v15, v25
	v_exp_f32_e32 v5, v5
	v_nop
	s_delay_alu instid0(TRANS32_DEP_1) | instskip(NEXT) | instid1(VALU_DEP_1)
	v_ldexp_f32 v5, v5, v8
	v_cndmask_b32_e32 v5, 0, v5, vcc_lo
	v_cmp_ngt_f32_e32 vcc_lo, 0xc2b17218, v1
	s_delay_alu instid0(VALU_DEP_2) | instskip(NEXT) | instid1(VALU_DEP_1)
	v_cndmask_b32_e32 v1, 0x7f800000, v5, vcc_lo
	v_add_f32_e32 v1, 1.0, v1
	s_delay_alu instid0(VALU_DEP_1) | instskip(SKIP_1) | instid1(VALU_DEP_2)
	v_div_scale_f32 v5, null, v1, v1, 1.0
	v_div_scale_f32 v12, vcc_lo, 1.0, v1, 1.0
	v_rcp_f32_e32 v8, v5
	v_nop
	s_delay_alu instid0(TRANS32_DEP_1) | instskip(NEXT) | instid1(VALU_DEP_1)
	v_fma_f32 v11, -v5, v8, 1.0
	v_fmac_f32_e32 v8, v11, v8
	s_delay_alu instid0(VALU_DEP_1) | instskip(NEXT) | instid1(VALU_DEP_1)
	v_mul_f32_e32 v11, v12, v8
	v_fma_f32 v13, -v5, v11, v12
	s_delay_alu instid0(VALU_DEP_1) | instskip(SKIP_1) | instid1(VALU_DEP_2)
	v_fmac_f32_e32 v11, v13, v8
	v_cvt_f32_f16_e32 v13, v22
	v_fma_f32 v5, -v5, v11, v12
	v_cvt_f32_f16_e32 v12, v23
	s_delay_alu instid0(VALU_DEP_2) | instskip(NEXT) | instid1(VALU_DEP_4)
	v_div_fmas_f32 v5, v5, v8, v11
	v_add_f32_e32 v11, v14, v13
	s_delay_alu instid0(VALU_DEP_2) | instskip(NEXT) | instid1(VALU_DEP_4)
	v_div_fixup_f32 v8, v5, v1, 1.0
	v_add_f32_e32 v5, v15, v12
	v_ashrrev_i32_e32 v1, 31, v0
                                        ; implicit-def: $vgpr12
	s_delay_alu instid0(VALU_DEP_2) | instskip(NEXT) | instid1(VALU_DEP_1)
	v_fmac_f32_e32 v11, v5, v8
	v_cmp_ngt_f32_e64 s6, 0x3f200000, |v11|
	s_wait_xcnt 0x0
	s_and_saveexec_b32 s7, s6
	s_delay_alu instid0(SALU_CYCLE_1)
	s_xor_b32 s6, exec_lo, s7
	s_cbranch_execz .LBB0_3
; %bb.2:
	v_add_f32_e64 v12, |v11|, |v11|
	s_delay_alu instid0(VALU_DEP_1) | instskip(SKIP_1) | instid1(VALU_DEP_2)
	v_mul_f32_e32 v13, 0x3fb8aa3b, v12
	v_cmp_ngt_f32_e32 vcc_lo, 0xc2ce8ed0, v12
	v_rndne_f32_e32 v14, v13
	v_fma_f32 v15, 0x3fb8aa3b, v12, -v13
	s_delay_alu instid0(VALU_DEP_2) | instskip(NEXT) | instid1(VALU_DEP_2)
	v_sub_f32_e32 v13, v13, v14
	v_fmamk_f32 v15, v12, 0x32a5705f, v15
	v_cvt_i32_f32_e32 v14, v14
	s_delay_alu instid0(VALU_DEP_2) | instskip(NEXT) | instid1(VALU_DEP_1)
	v_add_f32_e32 v13, v13, v15
	v_exp_f32_e32 v13, v13
	v_nop
	s_delay_alu instid0(TRANS32_DEP_1) | instskip(NEXT) | instid1(VALU_DEP_1)
	v_ldexp_f32 v13, v13, v14
	v_cndmask_b32_e32 v13, 0, v13, vcc_lo
	v_cmp_nlt_f32_e32 vcc_lo, 0x42b17218, v12
	s_delay_alu instid0(VALU_DEP_2) | instskip(NEXT) | instid1(VALU_DEP_1)
	v_cndmask_b32_e32 v12, 0x7f800000, v13, vcc_lo
	v_add_f32_e32 v12, 1.0, v12
	s_delay_alu instid0(VALU_DEP_1) | instskip(SKIP_1) | instid1(TRANS32_DEP_1)
	v_rcp_f32_e32 v12, v12
	v_nop
	v_fma_f32 v12, v12, -2.0, 1.0
.LBB0_3:
	s_or_saveexec_b32 s6, s6
	s_load_b64 s[0:1], s[0:1], 0x28
	s_xor_b32 exec_lo, exec_lo, s6
	s_cbranch_execz .LBB0_5
; %bb.4:
	v_mul_f32_e32 v12, v11, v11
	s_mov_b32 s7, 0xbbbac73d
	s_delay_alu instid0(VALU_DEP_1) | instid1(SALU_CYCLE_1)
	v_fmaak_f32 v13, s7, v12, 0x3ca908c9
	s_delay_alu instid0(VALU_DEP_1) | instskip(NEXT) | instid1(VALU_DEP_1)
	v_fmaak_f32 v13, v12, v13, 0xbd5c1c4e
	v_fmaak_f32 v13, v12, v13, 0x3e088382
	s_delay_alu instid0(VALU_DEP_1) | instskip(NEXT) | instid1(VALU_DEP_1)
	v_fmaak_f32 v13, v12, v13, 0xbeaaaa99
	v_mul_f32_e64 v13, |v11|, v13
	s_delay_alu instid0(VALU_DEP_1)
	v_fma_f32 v12, v12, v13, |v11|
.LBB0_5:
	s_or_b32 exec_lo, exec_lo, s6
	s_wait_loadcnt 0x2
	v_cvt_f32_f16_e32 v9, v9
	s_wait_loadcnt 0x1
	v_cvt_f32_f16_e32 v10, v10
	v_cvt_f32_f16_e32 v7, v7
	;; [unrolled: 1-line block ×3, first 2 shown]
	v_cvt_f16_f32_e32 v8, v8
	s_wait_kmcnt 0x0
	v_lshl_add_u64 v[0:1], v[0:1], 1, s[0:1]
	v_add_f32_e32 v9, v9, v10
	s_delay_alu instid0(VALU_DEP_1) | instskip(NEXT) | instid1(VALU_DEP_1)
	v_add_f32_e32 v7, v9, v7
	v_add_f32_e32 v6, v7, v6
	s_delay_alu instid0(VALU_DEP_1) | instskip(NEXT) | instid1(VALU_DEP_1)
	v_mul_f32_e32 v7, 0xbfb8aa3b, v6
	v_fma_f32 v9, 0xbfb8aa3b, v6, -v7
	v_rndne_f32_e32 v10, v7
	s_delay_alu instid0(VALU_DEP_2) | instskip(NEXT) | instid1(VALU_DEP_2)
	v_fmamk_f32 v9, v6, 0xb2a5705f, v9
	v_sub_f32_e32 v7, v7, v10
	s_delay_alu instid0(VALU_DEP_1) | instskip(SKIP_2) | instid1(VALU_DEP_3)
	v_add_f32_e32 v7, v7, v9
	v_cvt_i32_f32_e32 v9, v10
	v_cmp_nlt_f32_e32 vcc_lo, 0x42ce8ed0, v6
	v_exp_f32_e32 v7, v7
	v_nop
	s_delay_alu instid0(TRANS32_DEP_1) | instskip(NEXT) | instid1(VALU_DEP_1)
	v_ldexp_f32 v7, v7, v9
	v_cndmask_b32_e32 v7, 0, v7, vcc_lo
	v_cmp_ngt_f32_e32 vcc_lo, 0xc2b17218, v6
	s_delay_alu instid0(VALU_DEP_2) | instskip(NEXT) | instid1(VALU_DEP_1)
	v_cndmask_b32_e32 v6, 0x7f800000, v7, vcc_lo
	v_add_f32_e32 v9, 1.0, v6
	s_delay_alu instid0(VALU_DEP_1) | instskip(SKIP_1) | instid1(VALU_DEP_2)
	v_div_scale_f32 v7, null, v9, v9, 1.0
	v_div_scale_f32 v13, vcc_lo, 1.0, v9, 1.0
	v_rcp_f32_e32 v10, v7
	v_nop
	s_delay_alu instid0(TRANS32_DEP_1) | instskip(NEXT) | instid1(VALU_DEP_1)
	v_fma_f32 v6, -v7, v10, 1.0
	v_fmac_f32_e32 v10, v6, v10
	v_mad_u32 v6, v4, 5, v2
	v_bfi_b32 v2, 0x7fffffff, v12, v11
	s_wait_loadcnt 0x0
	v_cvt_f32_f16_e32 v11, v3
	v_mul_f32_e32 v14, v13, v10
	s_delay_alu instid0(VALU_DEP_2) | instskip(NEXT) | instid1(VALU_DEP_2)
	v_sub_f32_e32 v12, v11, v2
	v_fma_f32 v15, -v7, v14, v13
	global_store_b16 v6, v8, s[4:5] scale_offset
	v_fmac_f32_e32 v14, v15, v10
	s_delay_alu instid0(VALU_DEP_1) | instskip(SKIP_2) | instid1(VALU_DEP_3)
	v_fma_f32 v4, -v7, v14, v13
	v_ashrrev_i32_e32 v7, 31, v6
	v_add3_u32 v13, s2, s2, v6
	v_div_fmas_f32 v4, v4, v10, v14
	s_delay_alu instid0(VALU_DEP_3) | instskip(NEXT) | instid1(VALU_DEP_3)
	v_lshl_add_u64 v[10:11], v[6:7], 1, s[4:5]
	v_add_nc_u32_e32 v14, s2, v13
	s_delay_alu instid0(VALU_DEP_3) | instskip(SKIP_1) | instid1(VALU_DEP_4)
	v_div_fixup_f32 v7, v4, v9, 1.0
	v_cvt_f16_f32_e32 v9, v5
	v_lshl_add_u64 v[4:5], s[2:3], 1, v[10:11]
	s_wait_xcnt 0x0
	v_add_nc_u32_e32 v6, s2, v14
	v_fma_mixlo_f16 v10, v7, v12, v2
	v_cvt_f16_f32_e32 v7, v7
	v_cvt_f16_f32_e32 v2, v2
	global_store_b16 v[0:1], v10, off
	s_clause 0x3
	global_store_b16 v[4:5], v7, off
	global_store_b16 v13, v2, s[4:5] scale_offset
	global_store_b16 v14, v3, s[4:5] scale_offset
	;; [unrolled: 1-line block ×3, first 2 shown]
.LBB0_6:
	s_endpgm
	.section	.rodata,"a",@progbits
	.p2align	6, 0x0
	.amdhsa_kernel _Z16gru_cell_forwardI6__halffiEvPT_S2_S2_S2_S2_S2_S2_T1_S3_
		.amdhsa_group_segment_fixed_size 0
		.amdhsa_private_segment_fixed_size 0
		.amdhsa_kernarg_size 320
		.amdhsa_user_sgpr_count 2
		.amdhsa_user_sgpr_dispatch_ptr 0
		.amdhsa_user_sgpr_queue_ptr 0
		.amdhsa_user_sgpr_kernarg_segment_ptr 1
		.amdhsa_user_sgpr_dispatch_id 0
		.amdhsa_user_sgpr_kernarg_preload_length 0
		.amdhsa_user_sgpr_kernarg_preload_offset 0
		.amdhsa_user_sgpr_private_segment_size 0
		.amdhsa_wavefront_size32 1
		.amdhsa_uses_dynamic_stack 0
		.amdhsa_enable_private_segment 0
		.amdhsa_system_sgpr_workgroup_id_x 1
		.amdhsa_system_sgpr_workgroup_id_y 0
		.amdhsa_system_sgpr_workgroup_id_z 0
		.amdhsa_system_sgpr_workgroup_info 0
		.amdhsa_system_vgpr_workitem_id 0
		.amdhsa_next_free_vgpr 26
		.amdhsa_next_free_sgpr 14
		.amdhsa_named_barrier_count 0
		.amdhsa_reserve_vcc 1
		.amdhsa_float_round_mode_32 0
		.amdhsa_float_round_mode_16_64 0
		.amdhsa_float_denorm_mode_32 3
		.amdhsa_float_denorm_mode_16_64 3
		.amdhsa_fp16_overflow 0
		.amdhsa_memory_ordered 1
		.amdhsa_forward_progress 1
		.amdhsa_inst_pref_size 13
		.amdhsa_round_robin_scheduling 0
		.amdhsa_exception_fp_ieee_invalid_op 0
		.amdhsa_exception_fp_denorm_src 0
		.amdhsa_exception_fp_ieee_div_zero 0
		.amdhsa_exception_fp_ieee_overflow 0
		.amdhsa_exception_fp_ieee_underflow 0
		.amdhsa_exception_fp_ieee_inexact 0
		.amdhsa_exception_int_div_zero 0
	.end_amdhsa_kernel
	.section	.text._Z16gru_cell_forwardI6__halffiEvPT_S2_S2_S2_S2_S2_S2_T1_S3_,"axG",@progbits,_Z16gru_cell_forwardI6__halffiEvPT_S2_S2_S2_S2_S2_S2_T1_S3_,comdat
.Lfunc_end0:
	.size	_Z16gru_cell_forwardI6__halffiEvPT_S2_S2_S2_S2_S2_S2_T1_S3_, .Lfunc_end0-_Z16gru_cell_forwardI6__halffiEvPT_S2_S2_S2_S2_S2_S2_T1_S3_
                                        ; -- End function
	.set _Z16gru_cell_forwardI6__halffiEvPT_S2_S2_S2_S2_S2_S2_T1_S3_.num_vgpr, 26
	.set _Z16gru_cell_forwardI6__halffiEvPT_S2_S2_S2_S2_S2_S2_T1_S3_.num_agpr, 0
	.set _Z16gru_cell_forwardI6__halffiEvPT_S2_S2_S2_S2_S2_S2_T1_S3_.numbered_sgpr, 14
	.set _Z16gru_cell_forwardI6__halffiEvPT_S2_S2_S2_S2_S2_S2_T1_S3_.num_named_barrier, 0
	.set _Z16gru_cell_forwardI6__halffiEvPT_S2_S2_S2_S2_S2_S2_T1_S3_.private_seg_size, 0
	.set _Z16gru_cell_forwardI6__halffiEvPT_S2_S2_S2_S2_S2_S2_T1_S3_.uses_vcc, 1
	.set _Z16gru_cell_forwardI6__halffiEvPT_S2_S2_S2_S2_S2_S2_T1_S3_.uses_flat_scratch, 0
	.set _Z16gru_cell_forwardI6__halffiEvPT_S2_S2_S2_S2_S2_S2_T1_S3_.has_dyn_sized_stack, 0
	.set _Z16gru_cell_forwardI6__halffiEvPT_S2_S2_S2_S2_S2_S2_T1_S3_.has_recursion, 0
	.set _Z16gru_cell_forwardI6__halffiEvPT_S2_S2_S2_S2_S2_S2_T1_S3_.has_indirect_call, 0
	.section	.AMDGPU.csdata,"",@progbits
; Kernel info:
; codeLenInByte = 1600
; TotalNumSgprs: 16
; NumVgprs: 26
; ScratchSize: 0
; MemoryBound: 0
; FloatMode: 240
; IeeeMode: 1
; LDSByteSize: 0 bytes/workgroup (compile time only)
; SGPRBlocks: 0
; VGPRBlocks: 1
; NumSGPRsForWavesPerEU: 16
; NumVGPRsForWavesPerEU: 26
; NamedBarCnt: 0
; Occupancy: 16
; WaveLimiterHint : 0
; COMPUTE_PGM_RSRC2:SCRATCH_EN: 0
; COMPUTE_PGM_RSRC2:USER_SGPR: 2
; COMPUTE_PGM_RSRC2:TRAP_HANDLER: 0
; COMPUTE_PGM_RSRC2:TGID_X_EN: 1
; COMPUTE_PGM_RSRC2:TGID_Y_EN: 0
; COMPUTE_PGM_RSRC2:TGID_Z_EN: 0
; COMPUTE_PGM_RSRC2:TIDIG_COMP_CNT: 0
	.section	.AMDGPU.gpr_maximums,"",@progbits
	.set amdgpu.max_num_vgpr, 0
	.set amdgpu.max_num_agpr, 0
	.set amdgpu.max_num_sgpr, 0
	.section	.AMDGPU.csdata,"",@progbits
	.type	__hip_cuid_46ae67dada6578cd,@object ; @__hip_cuid_46ae67dada6578cd
	.section	.bss,"aw",@nobits
	.globl	__hip_cuid_46ae67dada6578cd
__hip_cuid_46ae67dada6578cd:
	.byte	0                               ; 0x0
	.size	__hip_cuid_46ae67dada6578cd, 1

	.ident	"AMD clang version 22.0.0git (https://github.com/RadeonOpenCompute/llvm-project roc-7.2.4 26084 f58b06dce1f9c15707c5f808fd002e18c2accf7e)"
	.section	".note.GNU-stack","",@progbits
	.addrsig
	.addrsig_sym __hip_cuid_46ae67dada6578cd
	.amdgpu_metadata
---
amdhsa.kernels:
  - .args:
      - .actual_access:  read_only
        .address_space:  global
        .offset:         0
        .size:           8
        .value_kind:     global_buffer
      - .actual_access:  read_only
        .address_space:  global
        .offset:         8
        .size:           8
        .value_kind:     global_buffer
      - .actual_access:  read_only
        .address_space:  global
        .offset:         16
        .size:           8
        .value_kind:     global_buffer
      - .actual_access:  read_only
        .address_space:  global
        .offset:         24
        .size:           8
        .value_kind:     global_buffer
      - .actual_access:  read_only
        .address_space:  global
        .offset:         32
        .size:           8
        .value_kind:     global_buffer
      - .actual_access:  write_only
        .address_space:  global
        .offset:         40
        .size:           8
        .value_kind:     global_buffer
      - .actual_access:  write_only
        .address_space:  global
        .offset:         48
        .size:           8
        .value_kind:     global_buffer
      - .offset:         56
        .size:           4
        .value_kind:     by_value
      - .offset:         60
        .size:           4
        .value_kind:     by_value
      - .offset:         64
        .size:           4
        .value_kind:     hidden_block_count_x
      - .offset:         68
        .size:           4
        .value_kind:     hidden_block_count_y
      - .offset:         72
        .size:           4
        .value_kind:     hidden_block_count_z
      - .offset:         76
        .size:           2
        .value_kind:     hidden_group_size_x
      - .offset:         78
        .size:           2
        .value_kind:     hidden_group_size_y
      - .offset:         80
        .size:           2
        .value_kind:     hidden_group_size_z
      - .offset:         82
        .size:           2
        .value_kind:     hidden_remainder_x
      - .offset:         84
        .size:           2
        .value_kind:     hidden_remainder_y
      - .offset:         86
        .size:           2
        .value_kind:     hidden_remainder_z
      - .offset:         104
        .size:           8
        .value_kind:     hidden_global_offset_x
      - .offset:         112
        .size:           8
        .value_kind:     hidden_global_offset_y
      - .offset:         120
        .size:           8
        .value_kind:     hidden_global_offset_z
      - .offset:         128
        .size:           2
        .value_kind:     hidden_grid_dims
    .group_segment_fixed_size: 0
    .kernarg_segment_align: 8
    .kernarg_segment_size: 320
    .language:       OpenCL C
    .language_version:
      - 2
      - 0
    .max_flat_workgroup_size: 1024
    .name:           _Z16gru_cell_forwardI6__halffiEvPT_S2_S2_S2_S2_S2_S2_T1_S3_
    .private_segment_fixed_size: 0
    .sgpr_count:     16
    .sgpr_spill_count: 0
    .symbol:         _Z16gru_cell_forwardI6__halffiEvPT_S2_S2_S2_S2_S2_S2_T1_S3_.kd
    .uniform_work_group_size: 1
    .uses_dynamic_stack: false
    .vgpr_count:     26
    .vgpr_spill_count: 0
    .wavefront_size: 32
amdhsa.target:   amdgcn-amd-amdhsa--gfx1250
amdhsa.version:
  - 1
  - 2
...

	.end_amdgpu_metadata
